;; amdgpu-corpus repo=ROCm/rocFFT kind=compiled arch=gfx950 opt=O3
	.text
	.amdgcn_target "amdgcn-amd-amdhsa--gfx950"
	.amdhsa_code_object_version 6
	.protected	bluestein_single_back_len33_dim1_sp_op_CI_CI ; -- Begin function bluestein_single_back_len33_dim1_sp_op_CI_CI
	.globl	bluestein_single_back_len33_dim1_sp_op_CI_CI
	.p2align	8
	.type	bluestein_single_back_len33_dim1_sp_op_CI_CI,@function
bluestein_single_back_len33_dim1_sp_op_CI_CI: ; @bluestein_single_back_len33_dim1_sp_op_CI_CI
; %bb.0:
	s_load_dwordx4 s[8:11], s[0:1], 0x28
	v_mul_u32_u24_e32 v1, 0x1746, v0
	v_lshrrev_b32_e32 v2, 16, v1
	v_mad_u64_u32 v[36:37], s[2:3], s2, 23, v[2:3]
	v_mov_b32_e32 v37, 0
	s_waitcnt lgkmcnt(0)
	v_cmp_gt_u64_e32 vcc, s[8:9], v[36:37]
	s_and_saveexec_b64 s[2:3], vcc
	s_cbranch_execz .LBB0_15
; %bb.1:
	v_mul_lo_u16_e32 v1, 11, v2
	s_mov_b32 s2, 0xb21642c9
	v_sub_u16_e32 v86, v0, v1
	v_mul_hi_u32 v0, v36, s2
	s_load_dwordx2 s[8:9], s[0:1], 0x0
	s_load_dwordx2 s[12:13], s[0:1], 0x38
	v_lshrrev_b32_e32 v0, 4, v0
	v_mul_lo_u32 v0, v0, 23
	v_sub_u32_e32 v0, v36, v0
	v_mul_u32_u24_e32 v87, 33, v0
	v_cmp_gt_u16_e32 vcc, 3, v86
	v_lshlrev_b32_e32 v84, 3, v86
	v_lshlrev_b32_e32 v88, 3, v87
	v_or_b32_e32 v85, 12, v86
	v_or_b32_e32 v37, 24, v86
	s_and_saveexec_b64 s[2:3], vcc
	s_cbranch_execz .LBB0_3
; %bb.2:
	s_load_dwordx2 s[4:5], s[0:1], 0x18
	v_mov_b32_e32 v0, s10
	v_mov_b32_e32 v1, s11
	v_lshl_add_u32 v50, v86, 3, v88
	v_add_u32_e32 v51, v88, v84
	s_waitcnt lgkmcnt(0)
	s_load_dwordx4 s[4:7], s[4:5], 0x0
	s_waitcnt lgkmcnt(0)
	v_mad_u64_u32 v[2:3], s[10:11], s6, v36, 0
	v_mad_u64_u32 v[4:5], s[10:11], s4, v86, 0
	v_mov_b32_e32 v6, v3
	v_mov_b32_e32 v8, v5
	v_mad_u64_u32 v[6:7], s[6:7], s7, v36, v[6:7]
	v_mov_b32_e32 v3, v6
	v_mad_u64_u32 v[6:7], s[6:7], s5, v86, v[8:9]
	v_mov_b32_e32 v5, v6
	v_lshl_add_u64 v[0:1], v[2:3], 3, v[0:1]
	v_lshl_add_u64 v[2:3], v[4:5], 3, v[0:1]
	v_mad_u64_u32 v[8:9], s[6:7], s4, v85, 0
	v_mad_u64_u32 v[4:5], s[6:7], s4, 24, v[2:3]
	s_mul_i32 s10, s5, 24
	v_mov_b32_e32 v10, v9
	v_add_u32_e32 v5, s10, v5
	v_mad_u64_u32 v[10:11], s[6:7], s5, v85, v[10:11]
	v_mad_u64_u32 v[6:7], s[6:7], s4, 24, v[4:5]
	v_mov_b32_e32 v9, v10
	v_add_u32_e32 v7, s10, v7
	v_lshl_add_u64 v[8:9], v[8:9], 3, v[0:1]
	global_load_dwordx2 v[10:11], v[2:3], off
	global_load_dwordx2 v[12:13], v[8:9], off
	global_load_dwordx2 v[14:15], v84, s[8:9]
	global_load_dwordx2 v[16:17], v84, s[8:9] offset:96
	v_mad_u64_u32 v[2:3], s[6:7], s4, 24, v[6:7]
	global_load_dwordx2 v[8:9], v84, s[8:9] offset:24
	global_load_dwordx2 v[18:19], v84, s[8:9] offset:48
	;; [unrolled: 1-line block ×3, first 2 shown]
	global_load_dwordx2 v[22:23], v[4:5], off
	v_add_u32_e32 v3, s10, v3
	v_mad_u64_u32 v[4:5], s[6:7], s4, 48, v[2:3]
	s_mul_i32 s11, s5, 48
	v_add_u32_e32 v5, s11, v5
	global_load_dwordx2 v[24:25], v[6:7], off
	global_load_dwordx2 v[26:27], v[2:3], off
	;; [unrolled: 1-line block ×3, first 2 shown]
	v_mad_u64_u32 v[2:3], s[6:7], s4, 24, v[4:5]
	v_mad_u64_u32 v[38:39], s[6:7], s4, v37, 0
	v_add_u32_e32 v3, s10, v3
	v_mov_b32_e32 v40, v39
	global_load_dwordx2 v[4:5], v[2:3], off
	v_mad_u64_u32 v[2:3], s[6:7], s4, 24, v[2:3]
	v_mad_u64_u32 v[40:41], s[6:7], s5, v37, v[40:41]
	v_add_u32_e32 v3, s10, v3
	global_load_dwordx2 v[6:7], v84, s[8:9] offset:120
	global_load_dwordx2 v[30:31], v[2:3], off
	global_load_dwordx2 v[32:33], v84, s[8:9] offset:144
	global_load_dwordx2 v[34:35], v84, s[8:9] offset:168
	v_mov_b32_e32 v39, v40
	v_lshl_add_u64 v[0:1], v[38:39], 3, v[0:1]
	global_load_dwordx2 v[38:39], v[0:1], off
	global_load_dwordx2 v[40:41], v84, s[8:9] offset:192
	v_mad_u64_u32 v[0:1], s[6:7], s4, 48, v[2:3]
	v_add_u32_e32 v1, s11, v1
	global_load_dwordx2 v[2:3], v[0:1], off
	global_load_dwordx2 v[42:43], v84, s[8:9] offset:216
	v_mad_u64_u32 v[0:1], s[4:5], s4, 24, v[0:1]
	v_add_u32_e32 v1, s10, v1
	global_load_dwordx2 v[44:45], v84, s[8:9] offset:240
	global_load_dwordx2 v[46:47], v[0:1], off
	s_waitcnt vmcnt(19)
	v_mul_f32_e32 v0, v11, v15
	v_mul_f32_e32 v1, v10, v15
	v_fmac_f32_e32 v0, v10, v14
	v_fma_f32 v1, v11, v14, -v1
	ds_write_b64 v50, v[0:1]
	s_waitcnt vmcnt(14)
	v_mul_f32_e32 v0, v23, v9
	v_mul_f32_e32 v1, v22, v9
	v_fmac_f32_e32 v0, v22, v8
	v_fma_f32 v1, v23, v8, -v1
	s_waitcnt vmcnt(13)
	v_mul_f32_e32 v8, v25, v19
	v_mul_f32_e32 v9, v24, v19
	v_fmac_f32_e32 v8, v24, v18
	v_fma_f32 v9, v25, v18, -v9
	v_mul_f32_e32 v48, v13, v17
	v_mul_f32_e32 v15, v12, v17
	ds_write2_b64 v51, v[0:1], v[8:9] offset0:3 offset1:6
	s_waitcnt vmcnt(12)
	v_mul_f32_e32 v0, v27, v21
	v_mul_f32_e32 v1, v26, v21
	v_fmac_f32_e32 v48, v12, v16
	v_fma_f32 v49, v13, v16, -v15
	v_fmac_f32_e32 v0, v26, v20
	v_fma_f32 v1, v27, v20, -v1
	ds_write2_b64 v51, v[0:1], v[48:49] offset0:9 offset1:12
	s_waitcnt vmcnt(9)
	v_mul_f32_e32 v0, v29, v7
	v_mul_f32_e32 v1, v28, v7
	v_fmac_f32_e32 v0, v28, v6
	v_fma_f32 v1, v29, v6, -v1
	s_waitcnt vmcnt(7)
	v_mul_f32_e32 v6, v5, v33
	v_fmac_f32_e32 v6, v4, v32
	v_mul_f32_e32 v4, v4, v33
	v_fma_f32 v7, v5, v32, -v4
	ds_write2_b64 v51, v[0:1], v[6:7] offset0:15 offset1:18
	s_waitcnt vmcnt(6)
	v_mul_f32_e32 v0, v31, v35
	v_mul_f32_e32 v1, v30, v35
	s_waitcnt vmcnt(4)
	v_mul_f32_e32 v4, v39, v41
	v_mul_f32_e32 v5, v38, v41
	v_fmac_f32_e32 v0, v30, v34
	v_fma_f32 v1, v31, v34, -v1
	v_fmac_f32_e32 v4, v38, v40
	v_fma_f32 v5, v39, v40, -v5
	ds_write2_b64 v51, v[0:1], v[4:5] offset0:21 offset1:24
	s_waitcnt vmcnt(2)
	v_mul_f32_e32 v0, v3, v43
	v_mul_f32_e32 v1, v2, v43
	v_fmac_f32_e32 v0, v2, v42
	v_fma_f32 v1, v3, v42, -v1
	s_waitcnt vmcnt(0)
	v_mul_f32_e32 v2, v47, v45
	v_mul_f32_e32 v3, v46, v45
	v_fmac_f32_e32 v2, v46, v44
	v_fma_f32 v3, v47, v44, -v3
	ds_write2_b64 v51, v[0:1], v[2:3] offset0:27 offset1:30
.LBB0_3:
	s_or_b64 exec, exec, s[2:3]
	s_load_dwordx2 s[2:3], s[0:1], 0x20
	s_load_dwordx2 s[4:5], s[0:1], 0x8
	v_mov_b64_e32 v[0:1], 0
	s_waitcnt lgkmcnt(0)
	s_barrier
	s_waitcnt lgkmcnt(0)
                                        ; implicit-def: $vgpr12
                                        ; implicit-def: $vgpr6
                                        ; implicit-def: $vgpr32
                                        ; implicit-def: $vgpr18
                                        ; implicit-def: $vgpr22
	s_and_saveexec_b64 s[0:1], vcc
	s_cbranch_execz .LBB0_5
; %bb.4:
	v_lshl_add_u32 v8, v87, 3, v84
	ds_read2_b64 v[0:3], v8 offset1:3
	ds_read2_b64 v[4:7], v8 offset0:6 offset1:9
	ds_read2_b64 v[20:23], v8 offset0:12 offset1:15
	;; [unrolled: 1-line block ×4, first 2 shown]
	ds_read_b64 v[32:33], v8 offset:240
.LBB0_5:
	s_or_b64 exec, exec, s[0:1]
	s_waitcnt lgkmcnt(0)
	v_pk_add_f32 v[30:31], v[2:3], v[32:33] neg_lo:[0,1] neg_hi:[0,1]
	s_mov_b32 s20, 0xbf68dda4
	v_pk_add_f32 v[26:27], v[32:33], v[2:3]
	s_mov_b32 s18, 0x3ed4b147
	v_pk_mul_f32 v[34:35], v[30:31], s[20:21] op_sel:[1,0] op_sel_hi:[0,0]
	v_pk_fma_f32 v[40:41], v[26:27], s[18:19], v[34:35] op_sel_hi:[1,0,1]
	v_pk_fma_f32 v[42:43], v[26:27], s[18:19], v[34:35] op_sel_hi:[1,0,1] neg_lo:[0,0,1] neg_hi:[0,0,1]
	v_mov_b32_e32 v34, v40
	v_mov_b32_e32 v35, v43
	s_mov_b32 s10, 0xbf7d64f0
	v_pk_add_f32 v[48:49], v[34:35], v[0:1]
	s_mov_b32 s16, 0xbe11bafb
	v_pk_mul_f32 v[34:35], v[30:31], s[10:11] op_sel:[1,0] op_sel_hi:[0,0]
	v_pk_add_f32 v[28:29], v[4:5], v[14:15] neg_lo:[0,1] neg_hi:[0,1]
	v_pk_fma_f32 v[38:39], v[26:27], s[16:17], v[34:35] op_sel_hi:[1,0,1]
	v_pk_fma_f32 v[34:35], v[26:27], s[16:17], v[34:35] op_sel_hi:[1,0,1] neg_lo:[0,0,1] neg_hi:[0,0,1]
	s_mov_b32 s6, 0xbf4178ce
	v_pk_add_f32 v[24:25], v[14:15], v[4:5]
	v_mov_b32_e32 v44, v38
	v_mov_b32_e32 v45, v35
	s_mov_b32 s14, 0xbf27a4f4
	v_pk_mul_f32 v[46:47], v[28:29], s[6:7] op_sel:[1,0] op_sel_hi:[0,0]
	v_pk_add_f32 v[50:51], v[44:45], v[0:1]
	v_pk_fma_f32 v[44:45], v[24:25], s[14:15], v[46:47] op_sel_hi:[1,0,1]
	v_pk_fma_f32 v[46:47], v[24:25], s[14:15], v[46:47] op_sel_hi:[1,0,1] neg_lo:[0,0,1] neg_hi:[0,0,1]
	v_mov_b32_e32 v52, v44
	v_mov_b32_e32 v53, v47
	s_mov_b32 s22, 0x3e903f40
	s_mov_b32 s0, 0xbf75a155
	v_pk_add_f32 v[56:57], v[52:53], v[48:49]
	v_pk_mul_f32 v[48:49], v[28:29], s[22:23] op_sel:[1,0] op_sel_hi:[0,0]
	v_pk_fma_f32 v[54:55], v[24:25], s[0:1], v[48:49] op_sel_hi:[1,0,1]
	v_pk_fma_f32 v[52:53], v[24:25], s[0:1], v[48:49] op_sel_hi:[1,0,1] neg_lo:[0,0,1] neg_hi:[0,0,1]
	v_pk_add_f32 v[10:11], v[6:7], v[12:13] neg_lo:[0,1] neg_hi:[0,1]
	v_mov_b32_e32 v48, v54
	v_mov_b32_e32 v49, v53
	v_pk_add_f32 v[8:9], v[12:13], v[6:7]
	v_pk_add_f32 v[58:59], v[48:49], v[50:51]
	v_pk_mul_f32 v[50:51], v[10:11], s[22:23] op_sel:[1,0] op_sel_hi:[0,0]
	v_pk_fma_f32 v[48:49], v[8:9], s[0:1], v[50:51] op_sel_hi:[1,0,1]
	v_pk_fma_f32 v[50:51], v[8:9], s[0:1], v[50:51] op_sel_hi:[1,0,1] neg_lo:[0,0,1] neg_hi:[0,0,1]
	v_mov_b32_e32 v60, v48
	v_mov_b32_e32 v61, v51
	s_mov_b32 s24, 0x3f68dda4
	v_pk_add_f32 v[66:67], v[60:61], v[56:57]
	v_pk_mul_f32 v[56:57], v[10:11], s[24:25] op_sel:[1,0] op_sel_hi:[0,0]
	v_pk_fma_f32 v[80:81], v[8:9], s[18:19], v[56:57] op_sel_hi:[1,0,1] neg_lo:[0,0,1] neg_hi:[0,0,1]
	v_pk_fma_f32 v[56:57], v[8:9], s[18:19], v[56:57] op_sel_hi:[1,0,1]
	s_mov_b32 s26, 0x3f575c64
	v_mov_b32_e32 v83, v57
	v_mov_b32_e32 v57, v81
	v_pk_add_f32 v[70:71], v[56:57], v[58:59]
	v_pk_mul_f32 v[58:59], v[10:11], s[10:11] op_sel:[1,0] op_sel_hi:[0,0]
	v_pk_fma_f32 v[56:57], v[8:9], s[16:17], v[58:59] op_sel_hi:[1,0,1]
	v_pk_fma_f32 v[58:59], v[8:9], s[16:17], v[58:59] op_sel_hi:[1,0,1] neg_lo:[0,0,1] neg_hi:[0,0,1]
	v_pk_mul_f32 v[60:61], v[8:9], s[26:27] op_sel_hi:[1,0]
	v_pk_mul_f32 v[8:9], v[8:9], s[14:15] op_sel_hi:[1,0]
	s_mov_b32 s22, 0x3f7d64f0
	v_pk_fma_f32 v[94:95], v[10:11], s[6:7], v[8:9] op_sel:[1,0,0] op_sel_hi:[0,0,1] neg_lo:[1,0,0] neg_hi:[1,0,0]
	v_pk_fma_f32 v[96:97], v[10:11], s[6:7], v[8:9] op_sel:[1,0,0] op_sel_hi:[0,0,1]
	v_pk_add_f32 v[98:99], v[20:21], v[18:19] neg_lo:[0,1] neg_hi:[0,1]
	v_pk_add_f32 v[64:65], v[20:21], v[18:19]
	v_pk_mul_f32 v[8:9], v[28:29], s[22:23] op_sel:[1,0] op_sel_hi:[0,0]
	v_mov_b32_e32 v100, v64
	v_mov_b32_e32 v101, v98
	v_pk_fma_f32 v[102:103], v[24:25], s[16:17], v[8:9] op_sel_hi:[1,0,1] neg_lo:[0,0,1] neg_hi:[0,0,1]
	v_pk_fma_f32 v[104:105], v[24:25], s[16:17], v[8:9] op_sel_hi:[1,0,1]
	s_mov_b32 s17, s22
	s_mov_b32 s28, 0xbf0a6770
	v_mov_b32_e32 v64, v99
	s_mov_b32 s23, s16
	v_pk_mul_f32 v[62:63], v[100:101], s[16:17]
	v_pk_fma_f32 v[90:91], v[10:11], s[28:29], v[60:61] op_sel:[1,0,0] op_sel_hi:[0,0,1] neg_lo:[1,0,0] neg_hi:[1,0,0]
	v_pk_fma_f32 v[92:93], v[10:11], s[28:29], v[60:61] op_sel:[1,0,0] op_sel_hi:[0,0,1]
	v_pk_fma_f32 v[60:61], v[64:65], s[22:23], v[62:63]
	v_pk_fma_f32 v[8:9], v[64:65], s[22:23], v[62:63] neg_lo:[0,0,1] neg_hi:[0,0,1]
	v_pk_mul_f32 v[10:11], v[30:31], s[28:29] op_sel:[1,0] op_sel_hi:[0,0]
	v_mov_b32_e32 v8, v60
	v_pk_add_f32 v[8:9], v[8:9], v[66:67]
	v_pk_fma_f32 v[66:67], v[26:27], s[26:27], v[10:11] op_sel_hi:[1,0,1]
	v_pk_fma_f32 v[68:69], v[26:27], s[26:27], v[10:11] op_sel_hi:[1,0,1] neg_lo:[0,0,1] neg_hi:[0,0,1]
	v_pk_mul_f32 v[10:11], v[24:25], s[26:27] op_sel_hi:[1,0]
	s_mov_b32 s27, s28
	s_mov_b32 s29, s26
	v_pk_mul_f32 v[72:73], v[100:101], s[26:27]
	v_pk_add_f32 v[108:109], v[22:23], v[16:17] neg_lo:[0,1] neg_hi:[0,1]
	v_pk_fma_f32 v[106:107], v[98:99], s[28:29], v[72:73] op_sel:[1,0,0] neg_lo:[1,0,0] neg_hi:[1,0,0]
	v_pk_fma_f32 v[74:75], v[64:65], s[28:29], v[72:73]
	v_pk_fma_f32 v[72:73], v[64:65], s[28:29], v[72:73] neg_lo:[0,0,1] neg_hi:[0,0,1]
	v_mov_b32_e32 v107, v75
	v_mov_b32_e32 v75, v73
	v_pk_add_f32 v[76:77], v[74:75], v[70:71]
	v_pk_add_f32 v[70:71], v[22:23], v[16:17]
	v_pk_mul_f32 v[72:73], v[30:31], s[6:7] op_sel:[1,0] op_sel_hi:[0,0]
	v_mov_b32_e32 v110, v70
	v_mov_b32_e32 v111, v108
	v_pk_fma_f32 v[112:113], v[26:27], s[14:15], v[72:73] op_sel_hi:[1,0,1] neg_lo:[0,0,1] neg_hi:[0,0,1]
	v_pk_fma_f32 v[114:115], v[26:27], s[14:15], v[72:73] op_sel_hi:[1,0,1]
	s_mov_b32 s15, s6
	s_mov_b32 s28, 0x3f0a6770
	v_mov_b32_e32 v70, v109
	s_mov_b32 s7, s14
	v_pk_mul_f32 v[72:73], v[110:111], s[14:15]
	s_mov_b32 s27, s28
	v_pk_fma_f32 v[116:117], v[108:109], s[6:7], v[72:73] op_sel:[1,0,0] neg_lo:[1,0,0] neg_hi:[1,0,0]
	v_pk_fma_f32 v[78:79], v[70:71], s[6:7], v[72:73]
	v_pk_fma_f32 v[72:73], v[70:71], s[6:7], v[72:73] neg_lo:[0,0,1] neg_hi:[0,0,1]
	v_pk_mul_f32 v[74:75], v[110:111], s[26:27]
	s_mov_b32 s26, 0xbe903f40
	v_mov_b32_e32 v117, v79
	v_mov_b32_e32 v79, v73
	v_pk_fma_f32 v[118:119], v[28:29], s[28:29], v[10:11] op_sel:[1,0,0] op_sel_hi:[0,0,1] neg_lo:[1,0,0] neg_hi:[1,0,0]
	v_pk_fma_f32 v[120:121], v[28:29], s[28:29], v[10:11] op_sel:[1,0,0] op_sel_hi:[0,0,1]
	v_pk_fma_f32 v[72:73], v[70:71], s[28:29], v[74:75]
	v_pk_fma_f32 v[10:11], v[70:71], s[28:29], v[74:75] neg_lo:[0,0,1] neg_hi:[0,0,1]
	v_pk_mul_f32 v[30:31], v[30:31], s[26:27] op_sel:[1,0] op_sel_hi:[0,0]
	v_mov_b32_e32 v10, v72
	v_pk_fma_f32 v[122:123], v[26:27], s[0:1], v[30:31] op_sel_hi:[1,0,1] neg_lo:[0,0,1] neg_hi:[0,0,1]
	v_pk_fma_f32 v[30:31], v[26:27], s[0:1], v[30:31] op_sel_hi:[1,0,1]
	v_pk_mul_f32 v[26:27], v[28:29], s[20:21] op_sel:[1,0] op_sel_hi:[0,0]
	v_pk_add_f32 v[10:11], v[10:11], v[8:9]
	v_pk_add_f32 v[8:9], v[78:79], v[76:77]
	v_pk_fma_f32 v[76:77], v[24:25], s[18:19], v[26:27] op_sel_hi:[1,0,1]
	v_pk_fma_f32 v[78:79], v[24:25], s[18:19], v[26:27] op_sel_hi:[1,0,1] neg_lo:[0,0,1] neg_hi:[0,0,1]
	v_mov_b32_e32 v24, v112
	v_mov_b32_e32 v25, v115
	v_pk_add_f32 v[24:25], v[24:25], v[0:1]
	v_mov_b32_e32 v26, v102
	v_mov_b32_e32 v27, v105
	v_pk_add_f32 v[24:25], v[26:27], v[24:25]
	;; [unrolled: 3-line block ×5, first 2 shown]
	v_mov_b32_e32 v118, v94
	v_mov_b32_e32 v119, v97
	s_mov_b32 s1, s26
	v_pk_add_f32 v[26:27], v[118:119], v[26:27]
	s_mov_b32 s27, s0
	v_pk_mul_f32 v[118:119], v[100:101], s[0:1]
	s_mov_b32 s19, s24
	v_pk_fma_f32 v[124:125], v[98:99], s[26:27], v[118:119] op_sel:[1,0,0] neg_lo:[1,0,0] neg_hi:[1,0,0]
	v_pk_fma_f32 v[126:127], v[64:65], s[26:27], v[118:119]
	s_mov_b32 s25, s18
	v_mov_b32_e32 v125, v127
	v_pk_add_f32 v[24:25], v[124:125], v[24:25]
	v_pk_mul_f32 v[124:125], v[100:101], s[18:19]
	v_mov_b32_e32 v93, v91
	v_pk_fma_f32 v[98:99], v[98:99], s[24:25], v[124:125] op_sel:[1,0,0] neg_lo:[1,0,0] neg_hi:[1,0,0]
	v_pk_fma_f32 v[128:129], v[64:65], s[24:25], v[124:125]
	v_pk_fma_f32 v[90:91], v[64:65], s[26:27], v[118:119] neg_lo:[0,0,1] neg_hi:[0,0,1]
	v_mov_b32_e32 v99, v129
	v_pk_add_f32 v[26:27], v[98:99], v[26:27]
	v_pk_mul_f32 v[98:99], v[110:111], s[18:19]
	s_mov_b32 s17, s10
	v_pk_fma_f32 v[130:131], v[108:109], s[24:25], v[98:99] op_sel:[1,0,0] neg_lo:[1,0,0] neg_hi:[1,0,0]
	v_pk_fma_f32 v[132:133], v[70:71], s[24:25], v[98:99]
	v_mov_b32_e32 v127, v91
	v_mov_b32_e32 v131, v133
	v_pk_fma_f32 v[90:91], v[64:65], s[24:25], v[124:125] neg_lo:[0,0,1] neg_hi:[0,0,1]
	v_pk_add_f32 v[24:25], v[130:131], v[24:25]
	s_mov_b32 s11, s16
	v_pk_mul_f32 v[130:131], v[110:111], s[16:17]
	v_mov_b32_e32 v115, v113
	v_mov_b32_e32 v129, v91
	v_pk_fma_f32 v[90:91], v[70:71], s[24:25], v[98:99] neg_lo:[0,0,1] neg_hi:[0,0,1]
	v_pk_fma_f32 v[108:109], v[108:109], s[10:11], v[130:131] op_sel:[1,0,0] neg_lo:[1,0,0] neg_hi:[1,0,0]
	v_pk_fma_f32 v[134:135], v[70:71], s[10:11], v[130:131]
	v_mov_b32_e32 v31, v123
	v_mov_b32_e32 v105, v103
	v_pk_add_f32 v[102:103], v[114:115], v[0:1]
	v_mov_b32_e32 v133, v91
	v_pk_fma_f32 v[90:91], v[70:71], s[10:11], v[130:131] neg_lo:[0,0,1] neg_hi:[0,0,1]
	v_mov_b32_e32 v109, v135
	v_mov_b32_e32 v28, v120
	v_pk_add_f32 v[102:103], v[104:105], v[102:103]
	v_pk_add_f32 v[30:31], v[30:31], v[0:1]
	v_mov_b32_e32 v135, v91
	v_mov_b32_e32 v90, v66
	;; [unrolled: 1-line block ×4, first 2 shown]
	v_pk_add_f32 v[28:29], v[28:29], v[30:31]
	v_pk_add_f32 v[30:31], v[92:93], v[102:103]
	;; [unrolled: 1-line block ×3, first 2 shown]
	v_mov_b32_e32 v92, v76
	v_mov_b32_e32 v93, v79
	;; [unrolled: 1-line block ×3, first 2 shown]
	v_pk_add_f32 v[34:35], v[34:35], v[0:1]
	v_pk_mul_f32 v[54:55], v[100:101], s[14:15]
	v_pk_add_f32 v[90:91], v[92:93], v[90:91]
	v_mov_b32_e32 v92, v56
	v_mov_b32_e32 v93, v59
	v_pk_add_f32 v[34:35], v[52:53], v[34:35]
	v_mov_b32_e32 v82, v80
	v_pk_fma_f32 v[52:53], v[64:65], s[6:7], v[54:55]
	v_pk_fma_f32 v[38:39], v[64:65], s[6:7], v[54:55] neg_lo:[0,0,1] neg_hi:[0,0,1]
	v_mov_b32_e32 v97, v95
	v_pk_add_f32 v[90:91], v[92:93], v[90:91]
	v_pk_add_f32 v[34:35], v[82:83], v[34:35]
	v_mov_b32_e32 v38, v52
	v_pk_mul_f32 v[82:83], v[110:111], s[0:1]
	v_pk_add_f32 v[28:29], v[96:97], v[28:29]
	v_pk_add_f32 v[38:39], v[38:39], v[90:91]
	v_pk_fma_f32 v[80:81], v[70:71], s[26:27], v[82:83]
	v_pk_fma_f32 v[90:91], v[70:71], s[26:27], v[82:83] neg_lo:[0,0,1] neg_hi:[0,0,1]
	v_pk_add_f32 v[30:31], v[126:127], v[30:31]
	v_pk_add_f32 v[28:29], v[128:129], v[28:29]
	;; [unrolled: 1-line block ×3, first 2 shown]
	v_mov_b32_e32 v90, v80
	v_pk_add_f32 v[26:27], v[108:109], v[26:27]
	v_pk_add_f32 v[30:31], v[132:133], v[30:31]
	;; [unrolled: 1-line block ×5, first 2 shown]
	v_mul_lo_u16_e32 v44, 11, v86
	s_barrier
	s_and_saveexec_b64 s[0:1], vcc
	s_cbranch_execz .LBB0_7
; %bb.6:
	v_pk_add_f32 v[2:3], v[2:3], v[0:1]
	v_mov_b32_e32 v69, v67
	v_pk_add_f32 v[2:3], v[4:5], v[2:3]
	v_pk_mul_f32 v[90:91], v[64:65], s[6:7]
	v_pk_add_f32 v[2:3], v[6:7], v[2:3]
	v_pk_add_f32 v[4:5], v[68:69], v[0:1]
	;; [unrolled: 1-line block ×3, first 2 shown]
	v_mov_b32_e32 v79, v77
	v_pk_add_f32 v[2:3], v[22:23], v[2:3]
	v_pk_add_f32 v[4:5], v[78:79], v[4:5]
	;; [unrolled: 1-line block ×3, first 2 shown]
	v_mov_b32_e32 v59, v57
	v_pk_add_f32 v[6:7], v[54:55], v[90:91] neg_lo:[0,1] neg_hi:[0,1]
	v_pk_mul_f32 v[92:93], v[70:71], s[26:27]
	v_pk_add_f32 v[2:3], v[18:19], v[2:3]
	v_pk_add_f32 v[4:5], v[58:59], v[4:5]
	v_mov_b32_e32 v7, v53
	v_pk_add_f32 v[2:3], v[12:13], v[2:3]
	v_pk_add_f32 v[4:5], v[6:7], v[4:5]
	v_pk_add_f32 v[6:7], v[82:83], v[92:93] neg_lo:[0,1] neg_hi:[0,1]
	v_pk_add_f32 v[2:3], v[14:15], v[2:3]
	v_mov_b32_e32 v7, v81
	v_mov_b32_e32 v43, v41
	v_pk_mul_f32 v[64:65], v[64:65], s[22:23]
	v_add_lshl_u32 v40, v87, v44, 3
	v_pk_add_f32 v[2:3], v[32:33], v[2:3]
	v_pk_add_f32 v[4:5], v[6:7], v[4:5]
	;; [unrolled: 1-line block ×3, first 2 shown]
	v_mov_b32_e32 v47, v45
	ds_write2_b64 v40, v[2:3], v[4:5] offset1:1
	v_pk_add_f32 v[0:1], v[46:47], v[0:1]
	v_mov_b32_e32 v51, v49
	v_pk_add_f32 v[2:3], v[62:63], v[64:65] neg_lo:[0,1] neg_hi:[0,1]
	v_pk_mul_f32 v[70:71], v[70:71], s[28:29]
	v_pk_add_f32 v[0:1], v[50:51], v[0:1]
	v_mov_b32_e32 v3, v61
	v_pk_add_f32 v[0:1], v[2:3], v[0:1]
	v_pk_add_f32 v[2:3], v[74:75], v[70:71] neg_lo:[0,1] neg_hi:[0,1]
	s_nop 0
	v_mov_b32_e32 v3, v73
	v_pk_add_f32 v[0:1], v[2:3], v[0:1]
	ds_write2_b64 v40, v[0:1], v[34:35] offset0:2 offset1:3
	ds_write2_b64 v40, v[24:25], v[26:27] offset0:4 offset1:5
	ds_write2_b64 v40, v[28:29], v[30:31] offset0:6 offset1:7
	ds_write2_b64 v40, v[8:9], v[10:11] offset0:8 offset1:9
	ds_write_b64 v40, v[38:39] offset:80
.LBB0_7:
	s_or_b64 exec, exec, s[0:1]
	v_lshlrev_b32_e32 v0, 4, v86
	s_load_dwordx4 s[0:3], s[2:3], 0x0
	s_waitcnt lgkmcnt(0)
	s_barrier
	global_load_dwordx4 v[0:3], v0, s[4:5]
	v_add_lshl_u32 v41, v87, v86, 3
	ds_read2_b64 v[12:15], v41 offset1:11
	ds_read_b64 v[4:5], v41 offset:176
	s_mov_b32 s4, 0x3f5db3d7
	v_lshl_add_u32 v40, v86, 3, v88
	s_waitcnt vmcnt(0) lgkmcnt(1)
	v_pk_mul_f32 v[6:7], v[14:15], v[0:1] op_sel:[0,1]
	v_mov_b32_e32 v16, v3
	v_pk_fma_f32 v[18:19], v[14:15], v[0:1], v[6:7] op_sel:[0,0,1] op_sel_hi:[1,1,0] neg_lo:[0,0,1] neg_hi:[0,0,1]
	v_pk_fma_f32 v[6:7], v[14:15], v[0:1], v[6:7] op_sel:[0,0,1] op_sel_hi:[1,0,0]
	s_waitcnt lgkmcnt(0)
	v_pk_mul_f32 v[14:15], v[4:5], v[16:17] op_sel_hi:[1,0]
	v_mov_b32_e32 v19, v7
	v_pk_fma_f32 v[6:7], v[4:5], v[2:3], v[14:15] op_sel:[0,0,1] op_sel_hi:[1,1,0] neg_lo:[0,0,1] neg_hi:[0,0,1]
	v_pk_fma_f32 v[4:5], v[4:5], v[2:3], v[14:15] op_sel:[0,0,1] op_sel_hi:[1,0,0]
	s_nop 0
	v_mov_b32_e32 v7, v5
	v_pk_add_f32 v[4:5], v[12:13], v[18:19]
	v_pk_add_f32 v[14:15], v[18:19], v[6:7]
	;; [unrolled: 1-line block ×3, first 2 shown]
	v_pk_add_f32 v[6:7], v[18:19], v[6:7] neg_lo:[0,1] neg_hi:[0,1]
	v_pk_fma_f32 v[12:13], -0.5, v[14:15], v[12:13] op_sel_hi:[0,1,1]
	v_pk_mul_f32 v[6:7], v[6:7], s[4:5] op_sel_hi:[1,0]
	s_nop 0
	v_pk_add_f32 v[14:15], v[12:13], v[6:7] op_sel:[0,1] op_sel_hi:[1,0]
	v_pk_add_f32 v[32:33], v[12:13], v[6:7] op_sel:[0,1] op_sel_hi:[1,0] neg_lo:[0,1] neg_hi:[0,1]
	v_mov_b32_e32 v6, v14
	v_mov_b32_e32 v7, v33
	;; [unrolled: 1-line block ×3, first 2 shown]
	ds_write2_b64 v40, v[4:5], v[6:7] offset1:11
	ds_write_b64 v40, v[32:33] offset:176
	s_waitcnt lgkmcnt(0)
	s_barrier
	s_and_saveexec_b64 s[4:5], vcc
	s_cbranch_execz .LBB0_9
; %bb.8:
	global_load_dwordx2 v[42:43], v84, s[8:9] offset:264
	s_add_u32 s6, s8, 0x108
	s_addc_u32 s7, s9, 0
	global_load_dwordx2 v[54:55], v84, s[6:7] offset:24
	global_load_dwordx2 v[56:57], v84, s[6:7] offset:48
	;; [unrolled: 1-line block ×10, first 2 shown]
	ds_read2_b64 v[12:15], v40 offset1:3
	ds_read2_b64 v[16:19], v40 offset0:6 offset1:9
	ds_read2_b64 v[20:23], v40 offset0:12 offset1:15
	;; [unrolled: 1-line block ×4, first 2 shown]
	ds_read_b64 v[74:75], v40 offset:240
	s_waitcnt vmcnt(6) lgkmcnt(3)
	v_mul_f32_e32 v78, v21, v61
	s_waitcnt vmcnt(5)
	v_mul_f32_e32 v79, v23, v63
	s_waitcnt vmcnt(4) lgkmcnt(2)
	v_mul_f32_e32 v80, v47, v65
	v_mul_f32_e32 v45, v13, v43
	;; [unrolled: 1-line block ×3, first 2 shown]
	v_fma_f32 v76, v12, v42, -v45
	v_fmac_f32_e32 v77, v13, v42
	v_mul_f32_e32 v12, v15, v55
	v_mul_f32_e32 v13, v14, v55
	;; [unrolled: 1-line block ×9, first 2 shown]
	s_waitcnt vmcnt(3)
	v_mul_f32_e32 v81, v49, v67
	v_mul_f32_e32 v63, v48, v67
	s_waitcnt vmcnt(2) lgkmcnt(1)
	v_mul_f32_e32 v82, v51, v69
	v_mul_f32_e32 v65, v50, v69
	s_waitcnt vmcnt(1)
	v_mul_f32_e32 v83, v53, v71
	v_mul_f32_e32 v67, v52, v71
	s_waitcnt vmcnt(0) lgkmcnt(0)
	v_mul_f32_e32 v71, v75, v73
	v_mul_f32_e32 v69, v74, v73
	v_fma_f32 v12, v14, v54, -v12
	v_fmac_f32_e32 v13, v15, v54
	v_fma_f32 v42, v16, v56, -v42
	v_fmac_f32_e32 v43, v17, v56
	v_fma_f32 v54, v18, v58, -v45
	v_fmac_f32_e32 v55, v19, v58
	v_fma_f32 v56, v20, v60, -v78
	v_fmac_f32_e32 v57, v21, v60
	v_fma_f32 v58, v22, v62, -v79
	v_fmac_f32_e32 v59, v23, v62
	v_fma_f32 v60, v46, v64, -v80
	v_fmac_f32_e32 v61, v47, v64
	v_fma_f32 v62, v48, v66, -v81
	v_fmac_f32_e32 v63, v49, v66
	v_fma_f32 v64, v50, v68, -v82
	v_fmac_f32_e32 v65, v51, v68
	v_fma_f32 v66, v52, v70, -v83
	v_fmac_f32_e32 v67, v53, v70
	v_fma_f32 v68, v74, v72, -v71
	v_fmac_f32_e32 v69, v75, v72
	ds_write2_b64 v40, v[76:77], v[12:13] offset1:3
	ds_write2_b64 v40, v[42:43], v[54:55] offset0:6 offset1:9
	ds_write2_b64 v40, v[56:57], v[58:59] offset0:12 offset1:15
	;; [unrolled: 1-line block ×4, first 2 shown]
	ds_write_b64 v40, v[68:69] offset:240
.LBB0_9:
	s_or_b64 exec, exec, s[4:5]
	s_waitcnt lgkmcnt(0)
	s_barrier
	s_and_saveexec_b64 s[4:5], vcc
	s_cbranch_execz .LBB0_11
; %bb.10:
	ds_read2_b64 v[4:7], v40 offset1:3
	ds_read2_b64 v[32:35], v40 offset0:6 offset1:9
	ds_read2_b64 v[24:27], v40 offset0:12 offset1:15
	;; [unrolled: 1-line block ×4, first 2 shown]
	ds_read_b64 v[38:39], v40 offset:240
.LBB0_11:
	s_or_b64 exec, exec, s[4:5]
	v_mov_b32_e32 v14, v0
	v_mov_b32_e32 v15, v0
	;; [unrolled: 1-line block ×6, first 2 shown]
	s_waitcnt lgkmcnt(0)
	s_barrier
	s_and_saveexec_b64 s[4:5], vcc
	s_cbranch_execz .LBB0_13
; %bb.12:
	v_pk_add_f32 v[16:17], v[6:7], v[4:5]
	v_lshl_add_u32 v132, v44, 3, v88
	v_pk_add_f32 v[16:17], v[32:33], v[16:17]
	v_pk_add_f32 v[52:53], v[38:39], v[6:7]
	;; [unrolled: 1-line block ×3, first 2 shown]
	s_mov_b32 s6, 0x3f575c64
	v_pk_add_f32 v[16:17], v[24:25], v[16:17]
	s_mov_b32 s20, 0xbf0a6770
	v_pk_add_f32 v[16:17], v[26:27], v[16:17]
	v_pk_add_f32 v[58:59], v[8:9], v[34:35]
	;; [unrolled: 1-line block ×3, first 2 shown]
	v_pk_add_f32 v[34:35], v[34:35], v[8:9] neg_lo:[0,1] neg_hi:[0,1]
	v_pk_add_f32 v[16:17], v[30:31], v[16:17]
	s_mov_b32 s7, 0x3f0a6770
	v_pk_add_f32 v[16:17], v[8:9], v[16:17]
	v_pk_add_f32 v[56:57], v[32:33], v[10:11] neg_lo:[0,1] neg_hi:[0,1]
	v_pk_add_f32 v[16:17], v[10:11], v[16:17]
	s_mov_b32 s24, 0xbf68dda4
	v_pk_add_f32 v[44:45], v[38:39], v[16:17]
	v_pk_add_f32 v[38:39], v[6:7], v[38:39] neg_lo:[0,1] neg_hi:[0,1]
	v_pk_add_f32 v[54:55], v[10:11], v[32:33]
	v_pk_mul_f32 v[8:9], v[38:39], s[20:21] op_sel_hi:[1,0]
	v_pk_mul_f32 v[16:17], v[56:57], s[24:25] op_sel_hi:[1,0]
	v_pk_fma_f32 v[6:7], v[52:53], s[6:7], v[8:9] op_sel:[0,0,1] op_sel_hi:[1,0,0]
	v_pk_fma_f32 v[8:9], v[52:53], s[6:7], v[8:9] op_sel:[0,0,1] op_sel_hi:[1,0,0] neg_lo:[0,0,1] neg_hi:[0,0,1]
	v_mov_b32_e32 v10, v6
	v_mov_b32_e32 v11, v9
	v_pk_add_f32 v[18:19], v[4:5], v[10:11]
	v_pk_fma_f32 v[10:11], v[54:55], s[18:19], v[16:17] op_sel:[0,0,1] op_sel_hi:[1,0,0]
	v_pk_fma_f32 v[16:17], v[54:55], s[18:19], v[16:17] op_sel:[0,0,1] op_sel_hi:[1,0,0] neg_lo:[0,0,1] neg_hi:[0,0,1]
	v_mov_b32_e32 v20, v10
	v_mov_b32_e32 v21, v17
	s_mov_b32 s16, 0xbe11bafb
	s_mov_b32 s22, 0xbf7d64f0
	v_pk_add_f32 v[22:23], v[20:21], v[18:19]
	s_mov_b32 s17, 0x3f7d64f0
	v_pk_mul_f32 v[20:21], v[34:35], s[22:23] op_sel_hi:[1,0]
	s_mov_b32 s10, 0xbf27a4f4
	v_pk_fma_f32 v[18:19], v[58:59], s[16:17], v[20:21] op_sel:[0,0,1] op_sel_hi:[1,0,0]
	v_pk_fma_f32 v[20:21], v[58:59], s[16:17], v[20:21] op_sel:[0,0,1] op_sel_hi:[1,0,0] neg_lo:[0,0,1] neg_hi:[0,0,1]
	v_pk_add_f32 v[42:43], v[24:25], v[30:31]
	v_pk_add_f32 v[46:47], v[24:25], v[30:31] neg_lo:[0,1] neg_hi:[0,1]
	v_mov_b32_e32 v24, v18
	v_mov_b32_e32 v25, v21
	s_mov_b32 s11, 0xbf4178ce
	v_pk_add_f32 v[48:49], v[26:27], v[28:29]
	v_pk_add_f32 v[50:51], v[26:27], v[28:29] neg_lo:[0,1] neg_hi:[0,1]
	v_pk_add_f32 v[28:29], v[24:25], v[22:23]
	v_mov_b32_e32 v22, v42
	v_mov_b32_e32 v42, v47
	s_mov_b32 s30, s11
	s_mov_b32 s31, s10
	v_mov_b32_e32 v23, v46
	v_pk_mul_f32 v[26:27], v[42:43], s[30:31]
	s_mov_b32 s14, 0xbf75a155
	v_pk_fma_f32 v[24:25], v[22:23], s[10:11], v[26:27]
	v_pk_fma_f32 v[30:31], v[22:23], s[10:11], v[26:27] neg_lo:[1,0,0] neg_hi:[1,0,0]
	s_mov_b32 s15, 0xbe903f40
	v_mov_b32_e32 v30, v24
	v_pk_add_f32 v[46:47], v[30:31], v[28:29]
	v_mov_b32_e32 v28, v48
	v_mov_b32_e32 v48, v51
	s_mov_b32 s28, s15
	s_mov_b32 s29, s14
	v_mov_b32_e32 v29, v50
	v_pk_mul_f32 v[32:33], v[48:49], s[28:29]
	s_mov_b32 s26, s17
	v_pk_fma_f32 v[30:31], v[28:29], s[14:15], v[32:33]
	v_pk_fma_f32 v[50:51], v[28:29], s[14:15], v[32:33] neg_lo:[1,0,0] neg_hi:[1,0,0]
	s_mov_b32 s27, s16
	v_mov_b32_e32 v50, v30
	v_pk_add_f32 v[46:47], v[50:51], v[46:47]
	ds_write2_b64 v132, v[44:45], v[46:47] offset1:1
	v_pk_mul_f32 v[44:45], v[42:43], s[26:27]
	s_mov_b32 s26, s7
	s_mov_b32 s27, s6
	v_pk_mul_f32 v[60:61], v[48:49], s[26:27]
	v_pk_mul_f32 v[66:67], v[38:39], s[24:25] op_sel_hi:[1,0]
	s_mov_b32 s26, s11
	v_pk_fma_f32 v[68:69], v[52:53], s[18:19], v[66:67] op_sel:[0,0,1] op_sel_hi:[1,0,0]
	v_pk_fma_f32 v[66:67], v[52:53], s[18:19], v[66:67] op_sel:[0,0,1] op_sel_hi:[1,0,0] neg_lo:[0,0,1] neg_hi:[0,0,1]
	v_pk_mul_f32 v[72:73], v[56:57], s[26:27] op_sel_hi:[1,0]
	v_mov_b32_e32 v70, v68
	v_mov_b32_e32 v71, v67
	v_pk_fma_f32 v[74:75], v[54:55], s[10:11], v[72:73] op_sel:[0,0,1] op_sel_hi:[1,0,0]
	v_pk_fma_f32 v[72:73], v[54:55], s[10:11], v[72:73] op_sel:[0,0,1] op_sel_hi:[1,0,0] neg_lo:[0,0,1] neg_hi:[0,0,1]
	v_pk_add_f32 v[70:71], v[4:5], v[70:71]
	v_mov_b32_e32 v76, v74
	v_mov_b32_e32 v77, v73
	s_mov_b32 s34, 0x3e903f40
	v_pk_add_f32 v[70:71], v[76:77], v[70:71]
	v_pk_mul_f32 v[76:77], v[34:35], s[34:35] op_sel_hi:[1,0]
	v_pk_mul_f32 v[92:93], v[38:39], s[22:23] op_sel_hi:[1,0]
	v_pk_fma_f32 v[78:79], v[58:59], s[14:15], v[76:77] op_sel:[0,0,1] op_sel_hi:[1,0,0]
	v_pk_fma_f32 v[76:77], v[58:59], s[14:15], v[76:77] op_sel:[0,0,1] op_sel_hi:[1,0,0] neg_lo:[0,0,1] neg_hi:[0,0,1]
	v_pk_fma_f32 v[94:95], v[52:53], s[16:17], v[92:93] op_sel:[0,0,1] op_sel_hi:[1,0,0]
	v_pk_fma_f32 v[92:93], v[52:53], s[16:17], v[92:93] op_sel:[0,0,1] op_sel_hi:[1,0,0] neg_lo:[0,0,1] neg_hi:[0,0,1]
	v_pk_mul_f32 v[98:99], v[56:57], s[34:35] op_sel_hi:[1,0]
	v_pk_fma_f32 v[46:47], v[22:23], s[16:17], v[44:45]
	v_pk_fma_f32 v[50:51], v[22:23], s[16:17], v[44:45] neg_lo:[1,0,0] neg_hi:[1,0,0]
	v_mov_b32_e32 v80, v78
	v_mov_b32_e32 v81, v77
	;; [unrolled: 1-line block ×4, first 2 shown]
	v_pk_fma_f32 v[100:101], v[54:55], s[14:15], v[98:99] op_sel:[0,0,1] op_sel_hi:[1,0,0]
	v_pk_fma_f32 v[98:99], v[54:55], s[14:15], v[98:99] op_sel:[0,0,1] op_sel_hi:[1,0,0] neg_lo:[0,0,1] neg_hi:[0,0,1]
	v_mov_b32_e32 v50, v46
	v_pk_fma_f32 v[62:63], v[28:29], s[6:7], v[60:61]
	v_pk_fma_f32 v[64:65], v[28:29], s[6:7], v[60:61] neg_lo:[1,0,0] neg_hi:[1,0,0]
	v_pk_add_f32 v[70:71], v[80:81], v[70:71]
	v_pk_mul_f32 v[82:83], v[48:49], s[30:31]
	v_pk_add_f32 v[96:97], v[4:5], v[96:97]
	v_mov_b32_e32 v102, v100
	v_mov_b32_e32 v103, v99
	s_mov_b32 s30, 0x3f68dda4
	v_mov_b32_e32 v64, v62
	v_pk_add_f32 v[50:51], v[50:51], v[70:71]
	s_mov_b32 s21, s6
	v_pk_add_f32 v[96:97], v[102:103], v[96:97]
	v_pk_mul_f32 v[102:103], v[34:35], s[30:31] op_sel_hi:[1,0]
	v_pk_add_f32 v[50:51], v[64:65], v[50:51]
	s_mov_b32 s24, s6
	s_mov_b32 s25, s20
	v_pk_mul_f32 v[64:65], v[42:43], s[20:21]
	v_pk_fma_f32 v[104:105], v[58:59], s[18:19], v[102:103] op_sel:[0,0,1] op_sel_hi:[1,0,0]
	v_pk_fma_f32 v[102:103], v[58:59], s[18:19], v[102:103] op_sel:[0,0,1] op_sel_hi:[1,0,0] neg_lo:[0,0,1] neg_hi:[0,0,1]
	v_pk_fma_f32 v[70:71], v[22:23], s[24:25], v[64:65]
	v_pk_fma_f32 v[80:81], v[22:23], s[24:25], v[64:65] neg_lo:[1,0,0] neg_hi:[1,0,0]
	v_mov_b32_e32 v106, v104
	v_mov_b32_e32 v107, v103
	;; [unrolled: 1-line block ×3, first 2 shown]
	v_pk_fma_f32 v[88:89], v[28:29], s[10:11], v[82:83]
	v_pk_fma_f32 v[90:91], v[28:29], s[10:11], v[82:83] neg_lo:[1,0,0] neg_hi:[1,0,0]
	v_pk_add_f32 v[96:97], v[106:107], v[96:97]
	v_mov_b32_e32 v90, v88
	v_pk_add_f32 v[80:81], v[80:81], v[96:97]
	v_pk_mul_f32 v[110:111], v[38:39], s[26:27] op_sel_hi:[1,0]
	v_pk_add_f32 v[80:81], v[90:91], v[80:81]
	ds_write2_b64 v132, v[50:51], v[80:81] offset0:2 offset1:3
	v_pk_mul_f32 v[50:51], v[42:43], s[28:29]
	s_mov_b32 s28, s17
	v_pk_fma_f32 v[112:113], v[52:53], s[10:11], v[110:111] op_sel:[0,0,1] op_sel_hi:[1,0,0]
	v_pk_fma_f32 v[110:111], v[52:53], s[10:11], v[110:111] op_sel:[0,0,1] op_sel_hi:[1,0,0] neg_lo:[0,0,1] neg_hi:[0,0,1]
	v_pk_mul_f32 v[116:117], v[56:57], s[28:29] op_sel_hi:[1,0]
	v_mov_b32_e32 v114, v112
	v_mov_b32_e32 v115, v111
	v_pk_fma_f32 v[118:119], v[54:55], s[16:17], v[116:117] op_sel:[0,0,1] op_sel_hi:[1,0,0]
	v_pk_fma_f32 v[116:117], v[54:55], s[16:17], v[116:117] op_sel:[0,0,1] op_sel_hi:[1,0,0] neg_lo:[0,0,1] neg_hi:[0,0,1]
	s_mov_b32 s31, s18
	v_pk_add_f32 v[114:115], v[4:5], v[114:115]
	v_mov_b32_e32 v120, v118
	v_mov_b32_e32 v121, v117
	s_mov_b32 s23, s16
	v_pk_mul_f32 v[96:97], v[48:49], s[30:31]
	v_pk_add_f32 v[114:115], v[120:121], v[114:115]
	v_pk_mul_f32 v[120:121], v[34:35], s[20:21] op_sel_hi:[1,0]
	s_mov_b32 s21, s22
	v_pk_mul_f32 v[48:49], v[48:49], s[22:23]
	s_mov_b32 s22, s15
	v_pk_mul_f32 v[38:39], v[38:39], s[22:23] op_sel_hi:[1,0]
	s_mov_b32 s22, s7
	v_pk_fma_f32 v[122:123], v[58:59], s[6:7], v[120:121] op_sel:[0,0,1] op_sel_hi:[1,0,0]
	v_pk_fma_f32 v[120:121], v[58:59], s[6:7], v[120:121] op_sel:[0,0,1] op_sel_hi:[1,0,0] neg_lo:[0,0,1] neg_hi:[0,0,1]
	v_pk_fma_f32 v[128:129], v[52:53], s[14:15], v[38:39] op_sel:[0,0,1] op_sel_hi:[1,0,0]
	v_pk_fma_f32 v[38:39], v[52:53], s[14:15], v[38:39] op_sel:[0,0,1] op_sel_hi:[1,0,0] neg_lo:[0,0,1] neg_hi:[0,0,1]
	v_pk_mul_f32 v[56:57], v[56:57], s[22:23] op_sel_hi:[1,0]
	v_pk_fma_f32 v[80:81], v[22:23], s[14:15], v[50:51]
	v_pk_fma_f32 v[90:91], v[22:23], s[14:15], v[50:51] neg_lo:[1,0,0] neg_hi:[1,0,0]
	s_mov_b32 s19, s30
	v_mov_b32_e32 v124, v122
	v_mov_b32_e32 v125, v121
	;; [unrolled: 1-line block ×4, first 2 shown]
	v_pk_fma_f32 v[130:131], v[54:55], s[6:7], v[56:57] op_sel:[0,0,1] op_sel_hi:[1,0,0]
	v_pk_fma_f32 v[54:55], v[54:55], s[6:7], v[56:57] op_sel:[0,0,1] op_sel_hi:[1,0,0] neg_lo:[0,0,1] neg_hi:[0,0,1]
	v_mov_b32_e32 v90, v80
	v_pk_fma_f32 v[106:107], v[28:29], s[18:19], v[96:97]
	v_pk_fma_f32 v[108:109], v[28:29], s[18:19], v[96:97] neg_lo:[1,0,0] neg_hi:[1,0,0]
	v_pk_add_f32 v[114:115], v[124:125], v[114:115]
	v_pk_add_f32 v[52:53], v[4:5], v[52:53]
	v_mov_b32_e32 v56, v130
	v_mov_b32_e32 v57, v55
	v_pk_mul_f32 v[34:35], v[34:35], s[26:27] op_sel_hi:[1,0]
	v_mov_b32_e32 v39, v129
	v_mov_b32_e32 v108, v106
	v_pk_add_f32 v[90:91], v[90:91], v[114:115]
	v_pk_mul_f32 v[42:43], v[42:43], s[30:31]
	v_pk_add_f32 v[52:53], v[56:57], v[52:53]
	v_pk_fma_f32 v[56:57], v[58:59], s[10:11], v[34:35] op_sel:[0,0,1] op_sel_hi:[1,0,0]
	v_pk_fma_f32 v[34:35], v[58:59], s[10:11], v[34:35] op_sel:[0,0,1] op_sel_hi:[1,0,0] neg_lo:[0,0,1] neg_hi:[0,0,1]
	v_pk_add_f32 v[38:39], v[4:5], v[38:39]
	v_mov_b32_e32 v55, v131
	v_pk_add_f32 v[90:91], v[108:109], v[90:91]
	v_pk_fma_f32 v[108:109], v[22:23], s[18:19], v[42:43]
	v_pk_fma_f32 v[114:115], v[22:23], s[18:19], v[42:43] neg_lo:[1,0,0] neg_hi:[1,0,0]
	s_mov_b32 s20, s16
	v_mov_b32_e32 v59, v35
	v_pk_fma_f32 v[42:43], v[22:23], s[18:19], v[42:43] neg_lo:[0,0,1] neg_hi:[0,0,1]
	v_pk_add_f32 v[38:39], v[54:55], v[38:39]
	v_mov_b32_e32 v35, v57
	v_pk_fma_f32 v[124:125], v[28:29], s[20:21], v[48:49]
	v_pk_fma_f32 v[126:127], v[28:29], s[20:21], v[48:49] neg_lo:[1,0,0] neg_hi:[1,0,0]
	v_mov_b32_e32 v43, v109
	v_pk_fma_f32 v[48:49], v[28:29], s[20:21], v[48:49] neg_lo:[0,0,1] neg_hi:[0,0,1]
	v_pk_add_f32 v[34:35], v[34:35], v[38:39]
	v_mov_b32_e32 v49, v125
	v_pk_add_f32 v[34:35], v[42:43], v[34:35]
	v_mov_b32_e32 v111, v113
	v_pk_add_f32 v[34:35], v[48:49], v[34:35]
	v_pk_add_f32 v[48:49], v[4:5], v[110:111]
	v_mov_b32_e32 v117, v119
	v_pk_fma_f32 v[38:39], v[22:23], s[14:15], v[50:51] neg_lo:[0,0,1] neg_hi:[0,0,1]
	v_pk_add_f32 v[48:49], v[116:117], v[48:49]
	v_mov_b32_e32 v121, v123
	v_mov_b32_e32 v39, v81
	v_pk_fma_f32 v[42:43], v[28:29], s[18:19], v[96:97] neg_lo:[0,0,1] neg_hi:[0,0,1]
	v_pk_add_f32 v[48:49], v[120:121], v[48:49]
	v_mov_b32_e32 v43, v107
	v_pk_add_f32 v[38:39], v[38:39], v[48:49]
	v_mov_b32_e32 v93, v95
	v_pk_add_f32 v[38:39], v[42:43], v[38:39]
	v_pk_add_f32 v[42:43], v[4:5], v[92:93]
	v_mov_b32_e32 v99, v101
	ds_write2_b64 v132, v[34:35], v[38:39] offset0:6 offset1:7
	v_pk_fma_f32 v[34:35], v[22:23], s[24:25], v[64:65] neg_lo:[0,0,1] neg_hi:[0,0,1]
	v_pk_add_f32 v[42:43], v[98:99], v[42:43]
	v_mov_b32_e32 v103, v105
	v_mov_b32_e32 v35, v71
	v_pk_fma_f32 v[38:39], v[28:29], s[10:11], v[82:83] neg_lo:[0,0,1] neg_hi:[0,0,1]
	v_pk_add_f32 v[42:43], v[102:103], v[42:43]
	v_mov_b32_e32 v39, v89
	v_pk_add_f32 v[34:35], v[34:35], v[42:43]
	v_mov_b32_e32 v67, v69
	v_mov_b32_e32 v9, v7
	v_pk_add_f32 v[34:35], v[38:39], v[34:35]
	v_pk_fma_f32 v[38:39], v[22:23], s[16:17], v[44:45] neg_lo:[0,0,1] neg_hi:[0,0,1]
	v_pk_add_f32 v[44:45], v[4:5], v[66:67]
	v_pk_add_f32 v[4:5], v[4:5], v[8:9]
	v_mov_b32_e32 v17, v11
	v_mov_b32_e32 v73, v75
	v_pk_add_f32 v[4:5], v[16:17], v[4:5]
	v_mov_b32_e32 v21, v19
	v_pk_fma_f32 v[6:7], v[22:23], s[10:11], v[26:27] neg_lo:[0,0,1] neg_hi:[0,0,1]
	v_mov_b32_e32 v58, v56
	v_pk_add_f32 v[44:45], v[72:73], v[44:45]
	v_mov_b32_e32 v77, v79
	v_pk_add_f32 v[4:5], v[20:21], v[4:5]
	v_mov_b32_e32 v7, v25
	v_mov_b32_e32 v114, v108
	v_pk_add_f32 v[52:53], v[58:59], v[52:53]
	v_mov_b32_e32 v39, v47
	v_pk_fma_f32 v[42:43], v[28:29], s[6:7], v[60:61] neg_lo:[0,0,1] neg_hi:[0,0,1]
	v_pk_add_f32 v[44:45], v[76:77], v[44:45]
	v_pk_add_f32 v[4:5], v[6:7], v[4:5]
	v_pk_fma_f32 v[6:7], v[28:29], s[14:15], v[32:33] neg_lo:[0,0,1] neg_hi:[0,0,1]
	v_mov_b32_e32 v126, v124
	v_pk_add_f32 v[52:53], v[114:115], v[52:53]
	v_mov_b32_e32 v43, v63
	v_pk_add_f32 v[38:39], v[38:39], v[44:45]
	;; [unrolled: 2-line block ×3, first 2 shown]
	v_pk_add_f32 v[38:39], v[42:43], v[38:39]
	v_pk_add_f32 v[4:5], v[6:7], v[4:5]
	ds_write2_b64 v132, v[90:91], v[52:53] offset0:4 offset1:5
	ds_write2_b64 v132, v[34:35], v[38:39] offset0:8 offset1:9
	ds_write_b64 v132, v[4:5] offset:80
.LBB0_13:
	s_or_b64 exec, exec, s[4:5]
	s_waitcnt lgkmcnt(0)
	s_barrier
	ds_read2_b64 v[4:7], v41 offset1:11
	ds_read_b64 v[8:9], v41 offset:176
	s_mov_b32 s4, 0x3f5db3d7
	s_waitcnt lgkmcnt(1)
	v_pk_mul_f32 v[0:1], v[0:1], v[6:7]
	s_nop 0
	v_pk_fma_f32 v[10:11], v[14:15], v[6:7], v[0:1] op_sel:[0,0,1] op_sel_hi:[1,1,0]
	v_pk_fma_f32 v[0:1], v[14:15], v[6:7], v[0:1] op_sel:[0,0,1] op_sel_hi:[1,1,0] neg_lo:[0,0,1] neg_hi:[0,0,1]
	s_nop 0
	v_mov_b32_e32 v11, v1
	s_waitcnt lgkmcnt(0)
	v_pk_mul_f32 v[0:1], v[2:3], v[8:9]
	s_nop 0
	v_pk_fma_f32 v[2:3], v[12:13], v[8:9], v[0:1] op_sel:[0,0,1] op_sel_hi:[1,1,0]
	v_pk_fma_f32 v[0:1], v[12:13], v[8:9], v[0:1] op_sel:[0,0,1] op_sel_hi:[1,1,0] neg_lo:[0,0,1] neg_hi:[0,0,1]
	s_nop 0
	v_mov_b32_e32 v3, v1
	v_pk_add_f32 v[0:1], v[4:5], v[10:11]
	v_pk_add_f32 v[6:7], v[10:11], v[2:3]
	;; [unrolled: 1-line block ×3, first 2 shown]
	v_pk_add_f32 v[2:3], v[10:11], v[2:3] neg_lo:[0,1] neg_hi:[0,1]
	v_pk_fma_f32 v[4:5], -0.5, v[6:7], v[4:5] op_sel_hi:[0,1,1]
	v_pk_mul_f32 v[2:3], v[2:3], s[4:5] op_sel_hi:[1,0]
	s_nop 0
	v_pk_add_f32 v[6:7], v[4:5], v[2:3] op_sel:[0,1] op_sel_hi:[1,0] neg_lo:[0,1] neg_hi:[0,1]
	v_pk_add_f32 v[2:3], v[4:5], v[2:3] op_sel:[0,1] op_sel_hi:[1,0]
	v_mov_b32_e32 v4, v6
	v_mov_b32_e32 v5, v3
	;; [unrolled: 1-line block ×3, first 2 shown]
	ds_write2_b64 v40, v[0:1], v[4:5] offset1:11
	ds_write_b64 v40, v[2:3] offset:176
	s_waitcnt lgkmcnt(0)
	s_barrier
	s_and_b64 exec, exec, vcc
	s_cbranch_execz .LBB0_15
; %bb.14:
	global_load_dwordx2 v[8:9], v84, s[8:9]
	global_load_dwordx2 v[10:11], v84, s[8:9] offset:24
	global_load_dwordx2 v[12:13], v84, s[8:9] offset:48
	;; [unrolled: 1-line block ×4, first 2 shown]
	ds_read_b64 v[22:23], v40
	global_load_dwordx2 v[26:27], v84, s[8:9] offset:120
	global_load_dwordx2 v[28:29], v84, s[8:9] offset:144
	;; [unrolled: 1-line block ×3, first 2 shown]
	v_lshl_add_u32 v40, v87, 3, v84
	ds_read2_b64 v[0:3], v40 offset0:3 offset1:6
	ds_read2_b64 v[4:7], v40 offset0:9 offset1:12
	v_mad_u64_u32 v[20:21], s[4:5], s2, v36, 0
	v_mad_u64_u32 v[24:25], s[6:7], s0, v86, 0
	v_mov_b32_e32 v32, v21
	v_mov_b32_e32 v34, v25
	v_mad_u64_u32 v[32:33], s[6:7], s3, v36, v[32:33]
	v_mov_b32_e32 v18, s12
	v_mov_b32_e32 v19, s13
	;; [unrolled: 3-line block ×3, first 2 shown]
	v_lshl_add_u64 v[18:19], v[20:21], 3, v[18:19]
	v_lshl_add_u64 v[20:21], v[24:25], 3, v[18:19]
	s_mul_i32 s2, s1, 24
	v_mad_u64_u32 v[24:25], s[6:7], s0, 24, v[20:21]
	s_mov_b32 s4, 0xf07c1f08
	v_add_u32_e32 v25, s2, v25
	s_mov_b32 s5, 0x3f9f07c1
	v_mad_u64_u32 v[32:33], s[6:7], s0, 24, v[24:25]
	v_add_u32_e32 v33, s2, v33
	v_mad_u64_u32 v[34:35], s[6:7], s0, 24, v[32:33]
	v_add_u32_e32 v35, s2, v35
	s_mul_i32 s3, s1, 48
	s_waitcnt vmcnt(7) lgkmcnt(2)
	v_mul_f32_e32 v36, v23, v9
	s_waitcnt vmcnt(6) lgkmcnt(1)
	v_mul_f32_e32 v38, v1, v11
	s_waitcnt vmcnt(5)
	v_mul_f32_e32 v39, v3, v13
	v_mul_f32_e32 v9, v22, v9
	v_mul_f32_e32 v11, v0, v11
	s_waitcnt vmcnt(4) lgkmcnt(0)
	v_mul_f32_e32 v41, v5, v15
	v_mul_f32_e32 v15, v4, v15
	v_fmac_f32_e32 v38, v0, v10
	v_fmac_f32_e32 v39, v2, v12
	;; [unrolled: 1-line block ×3, first 2 shown]
	v_fma_f32 v8, v8, v23, -v9
	v_fma_f32 v9, v10, v1, -v11
	v_fmac_f32_e32 v41, v4, v14
	v_fma_f32 v22, v14, v5, -v15
	v_cvt_f64_f32_e32 v[4:5], v38
	v_cvt_f64_f32_e32 v[10:11], v39
	global_load_dwordx2 v[38:39], v84, s[8:9] offset:192
	v_mul_f32_e32 v13, v2, v13
	v_fma_f32 v12, v12, v3, -v13
	v_cvt_f64_f32_e32 v[0:1], v36
	v_cvt_f64_f32_e32 v[2:3], v8
	s_waitcnt vmcnt(4)
	v_mul_f32_e32 v42, v7, v17
	v_cvt_f64_f32_e32 v[8:9], v9
	v_cvt_f64_f32_e32 v[12:13], v12
	;; [unrolled: 1-line block ×4, first 2 shown]
	v_mul_f64 v[0:1], v[0:1], s[4:5]
	v_mul_f64 v[2:3], v[2:3], s[4:5]
	;; [unrolled: 1-line block ×8, first 2 shown]
	v_cvt_f32_f64_e32 v0, v[0:1]
	v_cvt_f32_f64_e32 v1, v[2:3]
	v_fmac_f32_e32 v42, v6, v16
	v_cvt_f32_f64_e32 v2, v[4:5]
	v_cvt_f32_f64_e32 v3, v[8:9]
	;; [unrolled: 1-line block ×6, first 2 shown]
	global_store_dwordx2 v[20:21], v[0:1], off
	global_store_dwordx2 v[24:25], v[2:3], off
	;; [unrolled: 1-line block ×4, first 2 shown]
	v_cvt_f64_f32_e32 v[0:1], v42
	v_mul_f64 v[0:1], v[0:1], s[4:5]
	v_cvt_f32_f64_e32 v8, v[0:1]
	v_mul_f32_e32 v0, v6, v17
	v_fma_f32 v0, v16, v7, -v0
	v_cvt_f64_f32_e32 v[0:1], v0
	global_load_dwordx2 v[4:5], v84, s[8:9] offset:216
	v_mul_f64 v[0:1], v[0:1], s[4:5]
	v_mad_u64_u32 v[6:7], s[6:7], s0, v85, 0
	v_cvt_f32_f64_e32 v9, v[0:1]
	v_mov_b32_e32 v0, v7
	v_mad_u64_u32 v[10:11], s[6:7], s1, v85, v[0:1]
	v_mov_b32_e32 v7, v10
	global_load_dwordx2 v[10:11], v84, s[8:9] offset:240
	ds_read2_b64 v[0:3], v40 offset0:15 offset1:18
	v_lshl_add_u64 v[6:7], v[6:7], 3, v[18:19]
	global_store_dwordx2 v[6:7], v[8:9], off
	v_mad_u64_u32 v[8:9], s[6:7], s0, 48, v[34:35]
	s_waitcnt vmcnt(10) lgkmcnt(0)
	v_mul_f32_e32 v6, v1, v27
	v_fmac_f32_e32 v6, v0, v26
	v_mul_f32_e32 v0, v0, v27
	v_fma_f32 v0, v26, v1, -v0
	v_cvt_f64_f32_e32 v[6:7], v6
	v_cvt_f64_f32_e32 v[0:1], v0
	v_mul_f64 v[6:7], v[6:7], s[4:5]
	v_mul_f64 v[0:1], v[0:1], s[4:5]
	v_cvt_f32_f64_e32 v6, v[6:7]
	v_cvt_f32_f64_e32 v7, v[0:1]
	s_waitcnt vmcnt(9)
	v_mul_f32_e32 v0, v3, v29
	v_fmac_f32_e32 v0, v2, v28
	v_cvt_f64_f32_e32 v[0:1], v0
	v_add_u32_e32 v9, s3, v9
	v_mul_f64 v[0:1], v[0:1], s[4:5]
	global_store_dwordx2 v[8:9], v[6:7], off
	v_cvt_f32_f64_e32 v6, v[0:1]
	v_mul_f32_e32 v0, v2, v29
	v_fma_f32 v0, v28, v3, -v0
	v_cvt_f64_f32_e32 v[0:1], v0
	v_mul_f64 v[0:1], v[0:1], s[4:5]
	v_cvt_f32_f64_e32 v7, v[0:1]
	ds_read2_b64 v[0:3], v40 offset0:21 offset1:24
	v_mad_u64_u32 v[8:9], s[6:7], s0, 24, v[8:9]
	v_add_u32_e32 v9, s2, v9
	global_store_dwordx2 v[8:9], v[6:7], off
	s_waitcnt vmcnt(10) lgkmcnt(0)
	v_mul_f32_e32 v6, v1, v31
	v_fmac_f32_e32 v6, v0, v30
	v_mul_f32_e32 v0, v0, v31
	v_fma_f32 v0, v30, v1, -v0
	v_cvt_f64_f32_e32 v[6:7], v6
	v_cvt_f64_f32_e32 v[0:1], v0
	v_mul_f64 v[6:7], v[6:7], s[4:5]
	v_mul_f64 v[0:1], v[0:1], s[4:5]
	v_cvt_f32_f64_e32 v6, v[6:7]
	v_cvt_f32_f64_e32 v7, v[0:1]
	s_waitcnt vmcnt(9)
	v_mul_f32_e32 v0, v3, v39
	v_fmac_f32_e32 v0, v2, v38
	v_mad_u64_u32 v[8:9], s[6:7], s0, 24, v[8:9]
	v_cvt_f64_f32_e32 v[0:1], v0
	v_add_u32_e32 v9, s2, v9
	v_mul_f64 v[0:1], v[0:1], s[4:5]
	global_store_dwordx2 v[8:9], v[6:7], off
	v_cvt_f32_f64_e32 v6, v[0:1]
	v_mul_f32_e32 v0, v2, v39
	v_fma_f32 v0, v38, v3, -v0
	v_cvt_f64_f32_e32 v[0:1], v0
	v_mul_f64 v[0:1], v[0:1], s[4:5]
	v_cvt_f32_f64_e32 v7, v[0:1]
	v_mad_u64_u32 v[12:13], s[6:7], s0, v37, 0
	ds_read2_b64 v[0:3], v40 offset0:27 offset1:30
	v_mov_b32_e32 v14, v13
	v_mad_u64_u32 v[14:15], s[6:7], s1, v37, v[14:15]
	v_mov_b32_e32 v13, v14
	v_lshl_add_u64 v[12:13], v[12:13], 3, v[18:19]
	global_store_dwordx2 v[12:13], v[6:7], off
	s_waitcnt vmcnt(6) lgkmcnt(0)
	v_mul_f32_e32 v6, v1, v5
	v_fmac_f32_e32 v6, v0, v4
	v_mul_f32_e32 v0, v0, v5
	v_fma_f32 v0, v4, v1, -v0
	v_cvt_f64_f32_e32 v[6:7], v6
	v_cvt_f64_f32_e32 v[0:1], v0
	v_mul_f64 v[6:7], v[6:7], s[4:5]
	v_mul_f64 v[0:1], v[0:1], s[4:5]
	v_cvt_f32_f64_e32 v6, v[6:7]
	s_waitcnt vmcnt(5)
	v_mul_f32_e32 v4, v3, v11
	v_fmac_f32_e32 v4, v2, v10
	v_mul_f32_e32 v2, v2, v11
	v_cvt_f32_f64_e32 v7, v[0:1]
	v_mad_u64_u32 v[0:1], s[6:7], s0, 48, v[8:9]
	v_fma_f32 v2, v10, v3, -v2
	v_add_u32_e32 v1, s3, v1
	v_cvt_f64_f32_e32 v[4:5], v4
	v_cvt_f64_f32_e32 v[2:3], v2
	global_store_dwordx2 v[0:1], v[6:7], off
	v_mul_f64 v[4:5], v[4:5], s[4:5]
	v_mul_f64 v[2:3], v[2:3], s[4:5]
	v_mad_u64_u32 v[0:1], s[0:1], s0, 24, v[0:1]
	v_cvt_f32_f64_e32 v4, v[4:5]
	v_cvt_f32_f64_e32 v5, v[2:3]
	v_add_u32_e32 v1, s2, v1
	global_store_dwordx2 v[0:1], v[4:5], off
.LBB0_15:
	s_endpgm
	.section	.rodata,"a",@progbits
	.p2align	6, 0x0
	.amdhsa_kernel bluestein_single_back_len33_dim1_sp_op_CI_CI
		.amdhsa_group_segment_fixed_size 6072
		.amdhsa_private_segment_fixed_size 0
		.amdhsa_kernarg_size 104
		.amdhsa_user_sgpr_count 2
		.amdhsa_user_sgpr_dispatch_ptr 0
		.amdhsa_user_sgpr_queue_ptr 0
		.amdhsa_user_sgpr_kernarg_segment_ptr 1
		.amdhsa_user_sgpr_dispatch_id 0
		.amdhsa_user_sgpr_kernarg_preload_length 0
		.amdhsa_user_sgpr_kernarg_preload_offset 0
		.amdhsa_user_sgpr_private_segment_size 0
		.amdhsa_uses_dynamic_stack 0
		.amdhsa_enable_private_segment 0
		.amdhsa_system_sgpr_workgroup_id_x 1
		.amdhsa_system_sgpr_workgroup_id_y 0
		.amdhsa_system_sgpr_workgroup_id_z 0
		.amdhsa_system_sgpr_workgroup_info 0
		.amdhsa_system_vgpr_workitem_id 0
		.amdhsa_next_free_vgpr 136
		.amdhsa_next_free_sgpr 36
		.amdhsa_accum_offset 136
		.amdhsa_reserve_vcc 1
		.amdhsa_float_round_mode_32 0
		.amdhsa_float_round_mode_16_64 0
		.amdhsa_float_denorm_mode_32 3
		.amdhsa_float_denorm_mode_16_64 3
		.amdhsa_dx10_clamp 1
		.amdhsa_ieee_mode 1
		.amdhsa_fp16_overflow 0
		.amdhsa_tg_split 0
		.amdhsa_exception_fp_ieee_invalid_op 0
		.amdhsa_exception_fp_denorm_src 0
		.amdhsa_exception_fp_ieee_div_zero 0
		.amdhsa_exception_fp_ieee_overflow 0
		.amdhsa_exception_fp_ieee_underflow 0
		.amdhsa_exception_fp_ieee_inexact 0
		.amdhsa_exception_int_div_zero 0
	.end_amdhsa_kernel
	.text
.Lfunc_end0:
	.size	bluestein_single_back_len33_dim1_sp_op_CI_CI, .Lfunc_end0-bluestein_single_back_len33_dim1_sp_op_CI_CI
                                        ; -- End function
	.section	.AMDGPU.csdata,"",@progbits
; Kernel info:
; codeLenInByte = 6712
; NumSgprs: 42
; NumVgprs: 136
; NumAgprs: 0
; TotalNumVgprs: 136
; ScratchSize: 0
; MemoryBound: 0
; FloatMode: 240
; IeeeMode: 1
; LDSByteSize: 6072 bytes/workgroup (compile time only)
; SGPRBlocks: 5
; VGPRBlocks: 16
; NumSGPRsForWavesPerEU: 42
; NumVGPRsForWavesPerEU: 136
; AccumOffset: 136
; Occupancy: 3
; WaveLimiterHint : 1
; COMPUTE_PGM_RSRC2:SCRATCH_EN: 0
; COMPUTE_PGM_RSRC2:USER_SGPR: 2
; COMPUTE_PGM_RSRC2:TRAP_HANDLER: 0
; COMPUTE_PGM_RSRC2:TGID_X_EN: 1
; COMPUTE_PGM_RSRC2:TGID_Y_EN: 0
; COMPUTE_PGM_RSRC2:TGID_Z_EN: 0
; COMPUTE_PGM_RSRC2:TIDIG_COMP_CNT: 0
; COMPUTE_PGM_RSRC3_GFX90A:ACCUM_OFFSET: 33
; COMPUTE_PGM_RSRC3_GFX90A:TG_SPLIT: 0
	.text
	.p2alignl 6, 3212836864
	.fill 256, 4, 3212836864
	.type	__hip_cuid_c6707b59bdfd75dd,@object ; @__hip_cuid_c6707b59bdfd75dd
	.section	.bss,"aw",@nobits
	.globl	__hip_cuid_c6707b59bdfd75dd
__hip_cuid_c6707b59bdfd75dd:
	.byte	0                               ; 0x0
	.size	__hip_cuid_c6707b59bdfd75dd, 1

	.ident	"AMD clang version 19.0.0git (https://github.com/RadeonOpenCompute/llvm-project roc-6.4.0 25133 c7fe45cf4b819c5991fe208aaa96edf142730f1d)"
	.section	".note.GNU-stack","",@progbits
	.addrsig
	.addrsig_sym __hip_cuid_c6707b59bdfd75dd
	.amdgpu_metadata
---
amdhsa.kernels:
  - .agpr_count:     0
    .args:
      - .actual_access:  read_only
        .address_space:  global
        .offset:         0
        .size:           8
        .value_kind:     global_buffer
      - .actual_access:  read_only
        .address_space:  global
        .offset:         8
        .size:           8
        .value_kind:     global_buffer
      - .actual_access:  read_only
        .address_space:  global
        .offset:         16
        .size:           8
        .value_kind:     global_buffer
      - .actual_access:  read_only
        .address_space:  global
        .offset:         24
        .size:           8
        .value_kind:     global_buffer
      - .actual_access:  read_only
        .address_space:  global
        .offset:         32
        .size:           8
        .value_kind:     global_buffer
      - .offset:         40
        .size:           8
        .value_kind:     by_value
      - .address_space:  global
        .offset:         48
        .size:           8
        .value_kind:     global_buffer
      - .address_space:  global
        .offset:         56
        .size:           8
        .value_kind:     global_buffer
      - .address_space:  global
        .offset:         64
        .size:           8
        .value_kind:     global_buffer
      - .address_space:  global
        .offset:         72
        .size:           8
        .value_kind:     global_buffer
      - .offset:         80
        .size:           4
        .value_kind:     by_value
      - .address_space:  global
        .offset:         88
        .size:           8
        .value_kind:     global_buffer
      - .address_space:  global
        .offset:         96
        .size:           8
        .value_kind:     global_buffer
    .group_segment_fixed_size: 6072
    .kernarg_segment_align: 8
    .kernarg_segment_size: 104
    .language:       OpenCL C
    .language_version:
      - 2
      - 0
    .max_flat_workgroup_size: 253
    .name:           bluestein_single_back_len33_dim1_sp_op_CI_CI
    .private_segment_fixed_size: 0
    .sgpr_count:     42
    .sgpr_spill_count: 0
    .symbol:         bluestein_single_back_len33_dim1_sp_op_CI_CI.kd
    .uniform_work_group_size: 1
    .uses_dynamic_stack: false
    .vgpr_count:     136
    .vgpr_spill_count: 0
    .wavefront_size: 64
amdhsa.target:   amdgcn-amd-amdhsa--gfx950
amdhsa.version:
  - 1
  - 2
...

	.end_amdgpu_metadata
